;; amdgpu-corpus repo=zjin-lcf/HeCBench kind=compiled arch=gfx90a opt=O3
	.text
	.amdgcn_target "amdgcn-amd-amdhsa--gfx90a"
	.amdhsa_code_object_version 6
	.protected	_Z9initTablePyy         ; -- Begin function _Z9initTablePyy
	.globl	_Z9initTablePyy
	.p2align	8
	.type	_Z9initTablePyy,@function
_Z9initTablePyy:                        ; @_Z9initTablePyy
; %bb.0:
	s_load_dword s7, s[4:5], 0x1c
	s_load_dwordx4 s[0:3], s[4:5], 0x0
	s_waitcnt lgkmcnt(0)
	s_and_b32 s4, s7, 0xffff
	s_mul_i32 s6, s6, s4
	v_add_u32_e32 v0, s6, v0
	v_ashrrev_i32_e32 v1, 31, v0
	v_cmp_gt_u64_e32 vcc, s[2:3], v[0:1]
	s_and_saveexec_b64 s[2:3], vcc
	s_cbranch_execz .LBB0_2
; %bb.1:
	v_lshlrev_b64 v[2:3], 3, v[0:1]
	v_mov_b32_e32 v4, s1
	v_add_co_u32_e32 v2, vcc, s0, v2
	v_addc_co_u32_e32 v3, vcc, v4, v3, vcc
	global_store_dwordx2 v[2:3], v[0:1], off
.LBB0_2:
	s_endpgm
	.section	.rodata,"a",@progbits
	.p2align	6, 0x0
	.amdhsa_kernel _Z9initTablePyy
		.amdhsa_group_segment_fixed_size 0
		.amdhsa_private_segment_fixed_size 0
		.amdhsa_kernarg_size 272
		.amdhsa_user_sgpr_count 6
		.amdhsa_user_sgpr_private_segment_buffer 1
		.amdhsa_user_sgpr_dispatch_ptr 0
		.amdhsa_user_sgpr_queue_ptr 0
		.amdhsa_user_sgpr_kernarg_segment_ptr 1
		.amdhsa_user_sgpr_dispatch_id 0
		.amdhsa_user_sgpr_flat_scratch_init 0
		.amdhsa_user_sgpr_kernarg_preload_length 0
		.amdhsa_user_sgpr_kernarg_preload_offset 0
		.amdhsa_user_sgpr_private_segment_size 0
		.amdhsa_uses_dynamic_stack 0
		.amdhsa_system_sgpr_private_segment_wavefront_offset 0
		.amdhsa_system_sgpr_workgroup_id_x 1
		.amdhsa_system_sgpr_workgroup_id_y 0
		.amdhsa_system_sgpr_workgroup_id_z 0
		.amdhsa_system_sgpr_workgroup_info 0
		.amdhsa_system_vgpr_workitem_id 0
		.amdhsa_next_free_vgpr 5
		.amdhsa_next_free_sgpr 8
		.amdhsa_accum_offset 8
		.amdhsa_reserve_vcc 1
		.amdhsa_reserve_flat_scratch 0
		.amdhsa_float_round_mode_32 0
		.amdhsa_float_round_mode_16_64 0
		.amdhsa_float_denorm_mode_32 3
		.amdhsa_float_denorm_mode_16_64 3
		.amdhsa_dx10_clamp 1
		.amdhsa_ieee_mode 1
		.amdhsa_fp16_overflow 0
		.amdhsa_tg_split 0
		.amdhsa_exception_fp_ieee_invalid_op 0
		.amdhsa_exception_fp_denorm_src 0
		.amdhsa_exception_fp_ieee_div_zero 0
		.amdhsa_exception_fp_ieee_overflow 0
		.amdhsa_exception_fp_ieee_underflow 0
		.amdhsa_exception_fp_ieee_inexact 0
		.amdhsa_exception_int_div_zero 0
	.end_amdhsa_kernel
	.text
.Lfunc_end0:
	.size	_Z9initTablePyy, .Lfunc_end0-_Z9initTablePyy
                                        ; -- End function
	.section	.AMDGPU.csdata,"",@progbits
; Kernel info:
; codeLenInByte = 84
; NumSgprs: 12
; NumVgprs: 5
; NumAgprs: 0
; TotalNumVgprs: 5
; ScratchSize: 0
; MemoryBound: 0
; FloatMode: 240
; IeeeMode: 1
; LDSByteSize: 0 bytes/workgroup (compile time only)
; SGPRBlocks: 1
; VGPRBlocks: 0
; NumSGPRsForWavesPerEU: 12
; NumVGPRsForWavesPerEU: 5
; AccumOffset: 8
; Occupancy: 8
; WaveLimiterHint : 0
; COMPUTE_PGM_RSRC2:SCRATCH_EN: 0
; COMPUTE_PGM_RSRC2:USER_SGPR: 6
; COMPUTE_PGM_RSRC2:TRAP_HANDLER: 0
; COMPUTE_PGM_RSRC2:TGID_X_EN: 1
; COMPUTE_PGM_RSRC2:TGID_Y_EN: 0
; COMPUTE_PGM_RSRC2:TGID_Z_EN: 0
; COMPUTE_PGM_RSRC2:TIDIG_COMP_CNT: 0
; COMPUTE_PGM_RSRC3_GFX90A:ACCUM_OFFSET: 1
; COMPUTE_PGM_RSRC3_GFX90A:TG_SPLIT: 0
	.text
	.protected	_Z6updatePyy            ; -- Begin function _Z6updatePyy
	.globl	_Z6updatePyy
	.p2align	8
	.type	_Z6updatePyy,@function
_Z6updatePyy:                           ; @_Z6updatePyy
; %bb.0:
	s_load_dwordx4 s[4:7], s[4:5], 0x0
	s_mov_b64 s[10:11], 0
	s_waitcnt lgkmcnt(0)
	v_mov_b32_e32 v1, s6
	v_alignbit_b32 v1, s7, v1, 5
	s_lshr_b64 s[8:9], s[6:7], 5
	v_mad_u64_u32 v[2:3], s[0:1], v1, v0, 0
	s_and_b32 s9, s9, 0x1ffffff
	v_mov_b32_e32 v4, v3
	v_mad_u64_u32 v[0:1], s[0:1], s9, v0, v[4:5]
	v_mov_b32_e32 v3, v0
	v_cmp_lt_i64_e32 vcc, 0, v[2:3]
	v_ashrrev_i32_e32 v5, 31, v0
	v_cndmask_b32_e32 v1, 0, v0, vcc
	v_cndmask_b32_e32 v4, 0, v2, vcc
	v_lshrrev_b32_e32 v6, 31, v0
	v_sub_co_u32_e32 v0, vcc, v5, v2
	v_subb_co_u32_e32 v5, vcc, v5, v3, vcc
	s_add_u32 s0, 0, 0
	v_add_co_u32_e32 v7, vcc, v0, v4
	s_addc_u32 s2, 0, 0
	v_add_co_u32_e64 v0, s[0:1], s0, 13
	s_cmp_lg_u64 s[0:1], 0
	v_readfirstlane_b32 s1, v0
	s_addc_u32 s0, s2, 0
	s_mul_i32 s13, s1, 0xedb6db6d
	s_mul_hi_u32 s14, s1, 0xb6db6db7
	s_add_i32 s13, s14, s13
	s_mul_i32 s14, s0, 0xb6db6db7
	s_mul_i32 s2, s1, 0xb6db6db7
	s_add_i32 s13, s13, s14
	s_mul_hi_u32 s14, s1, s13
	s_mul_i32 s15, s1, s13
	s_mul_hi_u32 s1, s1, s2
	s_add_u32 s1, s1, s15
	s_mul_hi_u32 s3, s0, s2
	s_mul_i32 s12, s0, s2
	s_addc_u32 s2, 0, s14
	s_add_u32 s1, s1, s12
	s_mul_hi_u32 s14, s0, s13
	s_addc_u32 s1, s2, s3
	s_addc_u32 s2, s14, 0
	s_mul_i32 s3, s0, s13
	v_addc_co_u32_e32 v8, vcc, v5, v1, vcc
	s_add_u32 s1, s1, s3
	s_addc_u32 s2, 0, s2
	v_add_co_u32_e32 v9, vcc, s1, v0
	s_cmp_lg_u64 vcc, 0
	s_addc_u32 s2, s0, s2
	v_mad_u64_u32 v[0:1], s[0:1], v7, s2, 0
	v_mul_hi_u32 v4, v7, v9
	v_add_co_u32_e32 v10, vcc, v4, v0
	v_addc_co_u32_e32 v11, vcc, 0, v1, vcc
	v_mad_u64_u32 v[4:5], s[0:1], v8, v9, 0
	v_add_co_u32_e32 v4, vcc, v10, v4
	v_mad_u64_u32 v[0:1], s[0:1], v8, s2, 0
	v_addc_co_u32_e32 v4, vcc, v11, v5, vcc
	v_addc_co_u32_e32 v1, vcc, 0, v1, vcc
	v_add_co_u32_e32 v4, vcc, v4, v0
	s_mov_b32 s12, 0x49249249
	v_addc_co_u32_e32 v0, vcc, 0, v1, vcc
	s_mov_b32 s13, 0x12492492
	v_mul_lo_u32 v5, v0, s12
	v_mul_lo_u32 v10, v4, s13
	v_mad_u64_u32 v[0:1], s[0:1], v4, s12, 0
	v_add3_u32 v1, v1, v10, v5
	v_sub_u32_e32 v5, v8, v1
	v_mov_b32_e32 v10, 0x12492492
	v_sub_co_u32_e64 v0, s[0:1], v7, v0
	v_subb_co_u32_e64 v5, vcc, v5, v10, s[0:1]
	v_subrev_co_u32_e32 v7, vcc, s12, v0
	v_subbrev_co_u32_e32 v5, vcc, 0, v5, vcc
	s_mov_b32 s14, 0x12492491
	v_cmp_lt_u32_e32 vcc, s14, v5
	s_mov_b32 s15, 0x49249248
	v_cndmask_b32_e64 v11, 0, -1, vcc
	v_cmp_lt_u32_e32 vcc, s15, v7
	v_cndmask_b32_e64 v7, 0, -1, vcc
	v_cmp_eq_u32_e32 vcc, s13, v5
	v_cndmask_b32_e32 v5, v11, v7, vcc
	v_add_u32_e32 v7, 2, v4
	v_add_u32_e32 v11, 1, v4
	v_cmp_ne_u32_e32 vcc, 0, v5
	v_cndmask_b32_e32 v5, v11, v7, vcc
	v_subb_co_u32_e64 v1, vcc, v8, v1, s[0:1]
	v_cmp_lt_u32_e32 vcc, s14, v1
	v_cndmask_b32_e64 v7, 0, -1, vcc
	v_cmp_lt_u32_e32 vcc, s15, v0
	v_cndmask_b32_e64 v0, 0, -1, vcc
	v_cmp_eq_u32_e32 vcc, s13, v1
	v_cndmask_b32_e32 v0, v7, v0, vcc
	v_cmp_ne_u32_e32 vcc, 0, v0
	v_cndmask_b32_e32 v0, v4, v5, vcc
	v_add_u32_e32 v4, v0, v6
	v_mad_u64_u32 v[0:1], s[0:1], v4, s12, v[2:3]
	v_mov_b32_e32 v2, v1
	v_mad_u64_u32 v[2:3], s[0:1], v4, s13, v[2:3]
	v_mov_b32_e32 v1, v2
	v_cmp_gt_i64_e32 vcc, s[12:13], v[0:1]
	v_mov_b32_e32 v3, 0x49249249
	v_cndmask_b32_e32 v3, v3, v0, vcc
	v_cndmask_b32_e32 v2, v10, v2, vcc
	v_sub_co_u32_e32 v3, vcc, v0, v3
	v_subb_co_u32_e32 v2, vcc, v1, v2, vcc
	v_add_co_u32_e32 v6, vcc, s15, v3
	v_addc_co_u32_e32 v7, vcc, v2, v10, vcc
	v_mad_u64_u32 v[4:5], s[0:1], v6, s2, 0
	v_mul_hi_u32 v8, v6, v9
	v_add_co_u32_e32 v8, vcc, v8, v4
	v_mad_u64_u32 v[2:3], s[0:1], v7, v9, 0
	v_addc_co_u32_e32 v9, vcc, 0, v5, vcc
	v_add_co_u32_e32 v2, vcc, v8, v2
	v_mad_u64_u32 v[4:5], s[0:1], v7, s2, 0
	v_addc_co_u32_e32 v2, vcc, v9, v3, vcc
	v_addc_co_u32_e32 v3, vcc, 0, v5, vcc
	v_add_co_u32_e32 v2, vcc, v2, v4
	v_addc_co_u32_e32 v3, vcc, 0, v3, vcc
	v_mul_lo_u32 v4, v3, s12
	v_mul_lo_u32 v5, v2, s13
	v_mad_u64_u32 v[2:3], s[0:1], v2, s12, 0
	v_add3_u32 v3, v3, v5, v4
	v_sub_u32_e32 v4, v7, v3
	v_sub_co_u32_e64 v2, s[0:1], v6, v2
	v_subb_co_u32_e64 v4, vcc, v4, v10, s[0:1]
	v_subrev_co_u32_e32 v5, vcc, s12, v2
	v_subbrev_co_u32_e64 v8, s[2:3], 0, v4, vcc
	v_cmp_lt_u32_e64 s[2:3], s14, v8
	v_cndmask_b32_e64 v9, 0, -1, s[2:3]
	v_cmp_lt_u32_e64 s[2:3], s15, v5
	v_subb_co_u32_e32 v4, vcc, v4, v10, vcc
	v_cndmask_b32_e64 v11, 0, -1, s[2:3]
	v_cmp_eq_u32_e64 s[2:3], s13, v8
	v_subrev_co_u32_e32 v10, vcc, s12, v5
	v_cndmask_b32_e64 v9, v9, v11, s[2:3]
	v_subbrev_co_u32_e32 v4, vcc, 0, v4, vcc
	v_subb_co_u32_e64 v3, s[0:1], v7, v3, s[0:1]
	v_cmp_ne_u32_e32 vcc, 0, v9
	v_cmp_lt_u32_e64 s[0:1], s14, v3
	v_cndmask_b32_e32 v4, v8, v4, vcc
	v_cndmask_b32_e64 v8, 0, -1, s[0:1]
	v_cmp_lt_u32_e64 s[0:1], s15, v2
	v_cndmask_b32_e64 v9, 0, -1, s[0:1]
	v_cmp_eq_u32_e64 s[0:1], s13, v3
	v_cndmask_b32_e64 v8, v8, v9, s[0:1]
	v_cmp_ne_u32_e64 s[0:1], 0, v8
	v_cndmask_b32_e64 v3, v3, v4, s[0:1]
	v_cndmask_b32_e32 v4, v5, v10, vcc
	v_cndmask_b32_e64 v2, v2, v4, s[0:1]
	v_sub_co_u32_e32 v2, vcc, v2, v6
	v_subb_co_u32_e32 v3, vcc, v3, v7, vcc
	v_add_co_u32_e32 v0, vcc, v2, v0
	v_addc_co_u32_e32 v1, vcc, v3, v1, vcc
	v_mov_b32_e32 v2, 1
	v_cmp_ne_u64_e32 vcc, 0, v[0:1]
	v_mov_b32_e32 v3, 0
	s_and_saveexec_b64 s[0:1], vcc
	s_cbranch_execz .LBB1_26
; %bb.1:
	s_mov_b32 s33, 54
	v_mov_b32_e32 v3, 0
                                        ; implicit-def: $sgpr2_sgpr3
	s_branch .LBB1_11
.LBB1_2:                                ;   in Loop: Header=BB1_11 Depth=1
	s_or_b64 exec, exec, s[30:31]
	s_orn2_b64 s[28:29], s[28:29], exec
.LBB1_3:                                ;   in Loop: Header=BB1_11 Depth=1
	s_or_b64 exec, exec, s[26:27]
	s_orn2_b64 s[26:27], s[28:29], exec
.LBB1_4:                                ;   in Loop: Header=BB1_11 Depth=1
	s_or_b64 exec, exec, s[24:25]
	s_orn2_b64 s[24:25], s[26:27], exec
.LBB1_5:                                ;   in Loop: Header=BB1_11 Depth=1
	s_or_b64 exec, exec, s[22:23]
	s_orn2_b64 s[22:23], s[24:25], exec
.LBB1_6:                                ;   in Loop: Header=BB1_11 Depth=1
	s_or_b64 exec, exec, s[20:21]
	s_orn2_b64 s[20:21], s[22:23], exec
.LBB1_7:                                ;   in Loop: Header=BB1_11 Depth=1
	s_or_b64 exec, exec, s[18:19]
	s_orn2_b64 s[18:19], s[20:21], exec
.LBB1_8:                                ;   in Loop: Header=BB1_11 Depth=1
	s_or_b64 exec, exec, s[16:17]
	s_orn2_b64 s[16:17], s[18:19], exec
.LBB1_9:                                ;   in Loop: Header=BB1_11 Depth=1
	s_or_b64 exec, exec, s[14:15]
	s_andn2_b64 s[2:3], s[2:3], exec
	s_and_b64 s[14:15], s[16:17], exec
	s_or_b64 s[2:3], s[2:3], s[14:15]
.LBB1_10:                               ;   in Loop: Header=BB1_11 Depth=1
	s_or_b64 exec, exec, s[12:13]
	s_and_b64 s[12:13], exec, s[2:3]
	s_or_b64 s[10:11], s[12:13], s[10:11]
	s_andn2_b64 exec, exec, s[10:11]
	s_cbranch_execz .LBB1_21
.LBB1_11:                               ; =>This Inner Loop Header: Depth=1
	s_add_i32 s12, s33, 8
	v_lshrrev_b64 v[4:5], s12, v[0:1]
	v_and_b32_e32 v2, 1, v4
	v_cmp_eq_u64_e32 vcc, 0, v[2:3]
	v_mov_b32_e32 v4, s12
	s_or_b64 s[2:3], s[2:3], exec
	s_and_saveexec_b64 s[12:13], vcc
	s_cbranch_execz .LBB1_10
; %bb.12:                               ;   in Loop: Header=BB1_11 Depth=1
	s_add_i32 s14, s33, 7
	v_lshrrev_b64 v[4:5], s14, v[0:1]
	v_and_b32_e32 v2, 1, v4
	v_cmp_eq_u64_e32 vcc, 0, v[2:3]
	s_mov_b64 s[16:17], -1
	v_mov_b32_e32 v4, s14
	s_and_saveexec_b64 s[14:15], vcc
	s_cbranch_execz .LBB1_9
; %bb.13:                               ;   in Loop: Header=BB1_11 Depth=1
	s_add_i32 s16, s33, 6
	v_lshrrev_b64 v[4:5], s16, v[0:1]
	v_and_b32_e32 v2, 1, v4
	v_cmp_eq_u64_e32 vcc, 0, v[2:3]
	s_mov_b64 s[18:19], -1
	v_mov_b32_e32 v4, s16
	;; [unrolled: 9-line block ×7, first 2 shown]
	s_and_saveexec_b64 s[26:27], vcc
	s_cbranch_execz .LBB1_3
; %bb.19:                               ;   in Loop: Header=BB1_11 Depth=1
	v_lshrrev_b64 v[4:5], s33, v[0:1]
	v_and_b32_e32 v2, 1, v4
	v_cmp_eq_u64_e32 vcc, 0, v[2:3]
	v_mov_b32_e32 v4, s33
	s_and_saveexec_b64 s[30:31], vcc
	s_cbranch_execz .LBB1_2
; %bb.20:                               ;   in Loop: Header=BB1_11 Depth=1
	s_add_i32 s33, s33, -9
	s_cmp_eq_u32 s33, -9
	s_cselect_b64 s[28:29], -1, 0
	v_mov_b32_e32 v4, -1
	s_orn2_b64 s[28:29], s[28:29], exec
	s_branch .LBB1_2
.LBB1_21:
	s_or_b64 exec, exec, s[10:11]
	v_mov_b32_e32 v2, 2
	v_cmp_lt_i32_e32 vcc, 0, v4
	v_mov_b32_e32 v3, 0
	s_and_saveexec_b64 s[2:3], vcc
	s_cbranch_execz .LBB1_25
; %bb.22:
	v_add_u32_e32 v8, 1, v4
	v_add_u32_e32 v4, -1, v4
	v_mov_b32_e32 v5, 0
	v_mov_b32_e32 v2, 2
	s_mov_b64 s[10:11], 0
	v_mov_b32_e32 v3, 0
	v_pk_mov_b32 v[6:7], v[4:5], v[4:5] op_sel:[0,1]
.LBB1_23:                               ; =>This Inner Loop Header: Depth=1
	v_and_b32_e32 v4, 1, v2
	v_lshlrev_b32_e32 v9, 1, v2
	v_and_or_b32 v4, v9, 4, v4
	v_lshlrev_b32_e32 v9, 2, v2
	v_lshlrev_b32_e32 v10, 3, v2
	v_and_b32_e32 v9, 16, v9
	v_and_b32_e32 v10, 64, v10
	v_or3_b32 v4, v4, v9, v10
	v_lshlrev_b32_e32 v9, 4, v2
	v_lshlrev_b32_e32 v10, 5, v2
	v_and_b32_e32 v9, 0x100, v9
	v_and_b32_e32 v10, 0x400, v10
	v_or3_b32 v9, v4, v9, v10
	v_and_b32_e32 v4, 64, v2
	v_or_b32_e32 v10, 0x1000, v9
	v_cmp_eq_u64_e32 vcc, 0, v[4:5]
	v_cndmask_b32_e32 v9, v10, v9, vcc
	v_and_b32_e32 v4, 0x80, v2
	v_xor_b32_e32 v10, 0x4000, v9
	v_cmp_eq_u64_e32 vcc, 0, v[4:5]
	v_cndmask_b32_e32 v9, v10, v9, vcc
	v_and_b32_e32 v4, 0x100, v2
	v_xor_b32_e32 v10, 0x10000, v9
	;; [unrolled: 4-line block ×8, first 2 shown]
	v_cmp_eq_u64_e32 vcc, 0, v[4:5]
	v_cndmask_b32_e32 v9, v10, v9, vcc
	v_and_b32_e32 v4, 0x8000, v2
	v_xor_b32_e32 v10, 2.0, v9
	v_cmp_eq_u64_e32 vcc, 0, v[4:5]
	v_and_b32_e32 v4, 0x10000, v2
	v_cndmask_b32_e32 v9, v10, v9, vcc
	v_cmp_ne_u32_e32 vcc, 0, v4
	v_cndmask_b32_e64 v10, 0, 1, vcc
	v_and_b32_e32 v4, 0x20000, v2
	v_or_b32_e32 v11, 4, v10
	v_cmp_eq_u64_e32 vcc, 0, v[4:5]
	v_cndmask_b32_e32 v10, v11, v10, vcc
	v_and_b32_e32 v4, 0x40000, v2
	v_xor_b32_e32 v11, 16, v10
	v_cmp_eq_u64_e32 vcc, 0, v[4:5]
	v_cndmask_b32_e32 v10, v11, v10, vcc
	v_and_b32_e32 v4, 0x80000, v2
	v_xor_b32_e32 v11, 64, v10
	;; [unrolled: 4-line block ×12, first 2 shown]
	v_cmp_eq_u64_e32 vcc, 0, v[4:5]
	v_cndmask_b32_e32 v10, v11, v10, vcc
	v_and_b32_e32 v4, 2.0, v2
	v_xor_b32_e32 v11, 0x10000000, v10
	v_cmp_eq_u64_e32 vcc, 0, v[4:5]
	v_cndmask_b32_e32 v4, v11, v10, vcc
	v_xor_b32_e32 v10, 2.0, v4
	v_cmp_lt_i32_e32 vcc, -1, v2
	v_cndmask_b32_e32 v4, v10, v4, vcc
	v_and_b32_e32 v11, 1, v3
	v_mov_b32_e32 v10, v5
	v_xor_b32_e32 v12, 7, v9
	v_cmp_eq_u64_e32 vcc, 0, v[10:11]
	v_cndmask_b32_e32 v9, v12, v9, vcc
	v_and_b32_e32 v11, 2, v3
	v_xor_b32_e32 v12, 28, v9
	v_cmp_eq_u64_e32 vcc, 0, v[10:11]
	v_cndmask_b32_e32 v9, v12, v9, vcc
	v_and_b32_e32 v11, 4, v3
	;; [unrolled: 4-line block ×14, first 2 shown]
	v_xor_b32_e32 v12, 0x70000000, v9
	v_cmp_eq_u64_e32 vcc, 0, v[10:11]
	v_and_b32_e32 v11, 0x8000, v3
	v_cndmask_b32_e32 v9, v12, v9, vcc
	v_xor_b32_e32 v13, 1, v4
	v_cmp_eq_u64_e32 vcc, 0, v[10:11]
	v_xor_b32_e32 v12, -2.0, v9
	v_cndmask_b32_e32 v4, v13, v4, vcc
	v_and_b32_e32 v11, 0x10000, v3
	v_cndmask_b32_e32 v9, v12, v9, vcc
	v_xor_b32_e32 v12, 7, v4
	v_cmp_eq_u64_e32 vcc, 0, v[10:11]
	v_cndmask_b32_e32 v4, v12, v4, vcc
	v_and_b32_e32 v11, 0x20000, v3
	v_xor_b32_e32 v12, 28, v4
	v_cmp_eq_u64_e32 vcc, 0, v[10:11]
	v_cndmask_b32_e32 v4, v12, v4, vcc
	v_and_b32_e32 v11, 0x40000, v3
	v_xor_b32_e32 v12, 0x70, v4
	v_cmp_eq_u64_e32 vcc, 0, v[10:11]
	v_cndmask_b32_e32 v4, v12, v4, vcc
	v_and_b32_e32 v11, 0x80000, v3
	v_xor_b32_e32 v12, 0x1c0, v4
	v_cmp_eq_u64_e32 vcc, 0, v[10:11]
	v_cndmask_b32_e32 v4, v12, v4, vcc
	v_and_b32_e32 v11, 0x100000, v3
	v_xor_b32_e32 v12, 0x700, v4
	v_cmp_eq_u64_e32 vcc, 0, v[10:11]
	v_cndmask_b32_e32 v4, v12, v4, vcc
	v_and_b32_e32 v11, 0x200000, v3
	v_xor_b32_e32 v12, 0x1c00, v4
	v_cmp_eq_u64_e32 vcc, 0, v[10:11]
	v_cndmask_b32_e32 v4, v12, v4, vcc
	v_and_b32_e32 v11, 0x400000, v3
	v_xor_b32_e32 v12, 0x7000, v4
	v_cmp_eq_u64_e32 vcc, 0, v[10:11]
	v_cndmask_b32_e32 v4, v12, v4, vcc
	v_and_b32_e32 v11, 0x800000, v3
	v_xor_b32_e32 v12, 0x1c000, v4
	v_cmp_eq_u64_e32 vcc, 0, v[10:11]
	v_cndmask_b32_e32 v4, v12, v4, vcc
	v_and_b32_e32 v11, 0x1000000, v3
	v_xor_b32_e32 v12, 0x70000, v4
	v_cmp_eq_u64_e32 vcc, 0, v[10:11]
	v_cndmask_b32_e32 v4, v12, v4, vcc
	v_and_b32_e32 v11, 0x2000000, v3
	v_xor_b32_e32 v12, 0x1c0000, v4
	v_cmp_eq_u64_e32 vcc, 0, v[10:11]
	v_cndmask_b32_e32 v4, v12, v4, vcc
	v_and_b32_e32 v11, 0x4000000, v3
	v_xor_b32_e32 v12, 0x700000, v4
	v_cmp_eq_u64_e32 vcc, 0, v[10:11]
	v_cndmask_b32_e32 v4, v12, v4, vcc
	v_and_b32_e32 v11, 0x8000000, v3
	v_xor_b32_e32 v12, 0x1c00000, v4
	v_cmp_eq_u64_e32 vcc, 0, v[10:11]
	v_cndmask_b32_e32 v4, v12, v4, vcc
	v_and_b32_e32 v11, 0x10000000, v3
	v_xor_b32_e32 v12, 0x7000000, v4
	v_cmp_eq_u64_e32 vcc, 0, v[10:11]
	v_cndmask_b32_e32 v4, v12, v4, vcc
	v_and_b32_e32 v11, 0x20000000, v3
	v_xor_b32_e32 v12, 0x1c000000, v4
	v_cmp_eq_u64_e32 vcc, 0, v[10:11]
	v_cndmask_b32_e32 v4, v12, v4, vcc
	v_and_b32_e32 v11, 2.0, v3
	v_xor_b32_e32 v12, 0x70000000, v4
	v_cmp_eq_u64_e32 vcc, 0, v[10:11]
	v_cndmask_b32_e32 v4, v12, v4, vcc
	v_xor_b32_e32 v10, -2.0, v4
	v_cmp_gt_i64_e32 vcc, 0, v[2:3]
	v_xor_b32_e32 v11, 7, v9
	v_cndmask_b32_e32 v3, v4, v10, vcc
	v_cndmask_b32_e32 v2, v9, v11, vcc
	v_lshrrev_b64 v[10:11], v6, v[0:1]
	v_ashrrev_i32_e32 v9, 31, v3
	v_and_b32_e32 v4, 1, v10
	v_lshlrev_b64 v[10:11], 1, v[2:3]
	v_and_b32_e32 v9, 7, v9
	v_xor_b32_e32 v9, v9, v10
	v_cmp_eq_u64_e32 vcc, 0, v[4:5]
	v_add_u32_e32 v8, -1, v8
	v_cndmask_b32_e32 v3, v11, v3, vcc
	v_cndmask_b32_e32 v2, v9, v2, vcc
	v_cmp_gt_u32_e32 vcc, 2, v8
	s_or_b64 s[10:11], vcc, s[10:11]
	v_add_co_u32_e32 v6, vcc, -1, v6
	v_addc_co_u32_e32 v7, vcc, -1, v7, vcc
	s_andn2_b64 exec, exec, s[10:11]
	s_cbranch_execnz .LBB1_23
; %bb.24:
	s_or_b64 exec, exec, s[10:11]
.LBB1_25:
	s_or_b64 exec, exec, s[2:3]
.LBB1_26:
	s_or_b64 exec, exec, s[0:1]
	s_cmp_eq_u64 s[8:9], 0
	s_cbranch_scc1 .LBB1_29
; %bb.27:
	s_add_u32 s0, s6, -1
	s_addc_u32 s1, s7, -1
	v_mov_b32_e32 v0, s5
.LBB1_28:                               ; =>This Inner Loop Header: Depth=1
	v_ashrrev_i32_e32 v1, 31, v3
	v_lshlrev_b64 v[4:5], 1, v[2:3]
	v_and_b32_e32 v1, 7, v1
	v_xor_b32_e32 v4, v1, v4
	v_and_b32_e32 v3, s1, v5
	v_and_b32_e32 v2, s0, v4
	v_lshlrev_b64 v[2:3], 3, v[2:3]
	v_add_co_u32_e32 v2, vcc, s4, v2
	v_addc_co_u32_e32 v3, vcc, v0, v3, vcc
	global_atomic_xor_x2 v[2:3], v[4:5], off
	s_add_u32 s8, s8, -1
	s_addc_u32 s9, s9, -1
	s_cmp_eq_u64 s[8:9], 0
	v_pk_mov_b32 v[2:3], v[4:5], v[4:5] op_sel:[0,1]
	s_cbranch_scc0 .LBB1_28
.LBB1_29:
	s_endpgm
	.section	.rodata,"a",@progbits
	.p2align	6, 0x0
	.amdhsa_kernel _Z6updatePyy
		.amdhsa_group_segment_fixed_size 0
		.amdhsa_private_segment_fixed_size 0
		.amdhsa_kernarg_size 16
		.amdhsa_user_sgpr_count 6
		.amdhsa_user_sgpr_private_segment_buffer 1
		.amdhsa_user_sgpr_dispatch_ptr 0
		.amdhsa_user_sgpr_queue_ptr 0
		.amdhsa_user_sgpr_kernarg_segment_ptr 1
		.amdhsa_user_sgpr_dispatch_id 0
		.amdhsa_user_sgpr_flat_scratch_init 0
		.amdhsa_user_sgpr_kernarg_preload_length 0
		.amdhsa_user_sgpr_kernarg_preload_offset 0
		.amdhsa_user_sgpr_private_segment_size 0
		.amdhsa_uses_dynamic_stack 0
		.amdhsa_system_sgpr_private_segment_wavefront_offset 0
		.amdhsa_system_sgpr_workgroup_id_x 1
		.amdhsa_system_sgpr_workgroup_id_y 0
		.amdhsa_system_sgpr_workgroup_id_z 0
		.amdhsa_system_sgpr_workgroup_info 0
		.amdhsa_system_vgpr_workitem_id 0
		.amdhsa_next_free_vgpr 14
		.amdhsa_next_free_sgpr 34
		.amdhsa_accum_offset 16
		.amdhsa_reserve_vcc 1
		.amdhsa_reserve_flat_scratch 0
		.amdhsa_float_round_mode_32 0
		.amdhsa_float_round_mode_16_64 0
		.amdhsa_float_denorm_mode_32 3
		.amdhsa_float_denorm_mode_16_64 3
		.amdhsa_dx10_clamp 1
		.amdhsa_ieee_mode 1
		.amdhsa_fp16_overflow 0
		.amdhsa_tg_split 0
		.amdhsa_exception_fp_ieee_invalid_op 0
		.amdhsa_exception_fp_denorm_src 0
		.amdhsa_exception_fp_ieee_div_zero 0
		.amdhsa_exception_fp_ieee_overflow 0
		.amdhsa_exception_fp_ieee_underflow 0
		.amdhsa_exception_fp_ieee_inexact 0
		.amdhsa_exception_int_div_zero 0
	.end_amdhsa_kernel
	.text
.Lfunc_end1:
	.size	_Z6updatePyy, .Lfunc_end1-_Z6updatePyy
                                        ; -- End function
	.section	.AMDGPU.csdata,"",@progbits
; Kernel info:
; codeLenInByte = 2932
; NumSgprs: 38
; NumVgprs: 14
; NumAgprs: 0
; TotalNumVgprs: 14
; ScratchSize: 0
; MemoryBound: 0
; FloatMode: 240
; IeeeMode: 1
; LDSByteSize: 0 bytes/workgroup (compile time only)
; SGPRBlocks: 4
; VGPRBlocks: 1
; NumSGPRsForWavesPerEU: 38
; NumVGPRsForWavesPerEU: 14
; AccumOffset: 16
; Occupancy: 8
; WaveLimiterHint : 0
; COMPUTE_PGM_RSRC2:SCRATCH_EN: 0
; COMPUTE_PGM_RSRC2:USER_SGPR: 6
; COMPUTE_PGM_RSRC2:TRAP_HANDLER: 0
; COMPUTE_PGM_RSRC2:TGID_X_EN: 1
; COMPUTE_PGM_RSRC2:TGID_Y_EN: 0
; COMPUTE_PGM_RSRC2:TGID_Z_EN: 0
; COMPUTE_PGM_RSRC2:TIDIG_COMP_CNT: 0
; COMPUTE_PGM_RSRC3_GFX90A:ACCUM_OFFSET: 3
; COMPUTE_PGM_RSRC3_GFX90A:TG_SPLIT: 0
	.text
	.p2alignl 6, 3212836864
	.fill 256, 4, 3212836864
	.type	__hip_cuid_63116c5c047dc7f4,@object ; @__hip_cuid_63116c5c047dc7f4
	.section	.bss,"aw",@nobits
	.globl	__hip_cuid_63116c5c047dc7f4
__hip_cuid_63116c5c047dc7f4:
	.byte	0                               ; 0x0
	.size	__hip_cuid_63116c5c047dc7f4, 1

	.ident	"AMD clang version 19.0.0git (https://github.com/RadeonOpenCompute/llvm-project roc-6.4.0 25133 c7fe45cf4b819c5991fe208aaa96edf142730f1d)"
	.section	".note.GNU-stack","",@progbits
	.addrsig
	.addrsig_sym __hip_cuid_63116c5c047dc7f4
	.amdgpu_metadata
---
amdhsa.kernels:
  - .agpr_count:     0
    .args:
      - .address_space:  global
        .offset:         0
        .size:           8
        .value_kind:     global_buffer
      - .offset:         8
        .size:           8
        .value_kind:     by_value
      - .offset:         16
        .size:           4
        .value_kind:     hidden_block_count_x
      - .offset:         20
        .size:           4
        .value_kind:     hidden_block_count_y
      - .offset:         24
        .size:           4
        .value_kind:     hidden_block_count_z
      - .offset:         28
        .size:           2
        .value_kind:     hidden_group_size_x
      - .offset:         30
        .size:           2
        .value_kind:     hidden_group_size_y
      - .offset:         32
        .size:           2
        .value_kind:     hidden_group_size_z
      - .offset:         34
        .size:           2
        .value_kind:     hidden_remainder_x
      - .offset:         36
        .size:           2
        .value_kind:     hidden_remainder_y
      - .offset:         38
        .size:           2
        .value_kind:     hidden_remainder_z
      - .offset:         56
        .size:           8
        .value_kind:     hidden_global_offset_x
      - .offset:         64
        .size:           8
        .value_kind:     hidden_global_offset_y
      - .offset:         72
        .size:           8
        .value_kind:     hidden_global_offset_z
      - .offset:         80
        .size:           2
        .value_kind:     hidden_grid_dims
    .group_segment_fixed_size: 0
    .kernarg_segment_align: 8
    .kernarg_segment_size: 272
    .language:       OpenCL C
    .language_version:
      - 2
      - 0
    .max_flat_workgroup_size: 1024
    .name:           _Z9initTablePyy
    .private_segment_fixed_size: 0
    .sgpr_count:     12
    .sgpr_spill_count: 0
    .symbol:         _Z9initTablePyy.kd
    .uniform_work_group_size: 1
    .uses_dynamic_stack: false
    .vgpr_count:     5
    .vgpr_spill_count: 0
    .wavefront_size: 64
  - .agpr_count:     0
    .args:
      - .address_space:  global
        .offset:         0
        .size:           8
        .value_kind:     global_buffer
      - .offset:         8
        .size:           8
        .value_kind:     by_value
    .group_segment_fixed_size: 0
    .kernarg_segment_align: 8
    .kernarg_segment_size: 16
    .language:       OpenCL C
    .language_version:
      - 2
      - 0
    .max_flat_workgroup_size: 1024
    .name:           _Z6updatePyy
    .private_segment_fixed_size: 0
    .sgpr_count:     38
    .sgpr_spill_count: 0
    .symbol:         _Z6updatePyy.kd
    .uniform_work_group_size: 1
    .uses_dynamic_stack: false
    .vgpr_count:     14
    .vgpr_spill_count: 0
    .wavefront_size: 64
amdhsa.target:   amdgcn-amd-amdhsa--gfx90a
amdhsa.version:
  - 1
  - 2
...

	.end_amdgpu_metadata
